;; amdgpu-corpus repo=ROCm/rocFFT kind=compiled arch=gfx1030 opt=O3
	.text
	.amdgcn_target "amdgcn-amd-amdhsa--gfx1030"
	.amdhsa_code_object_version 6
	.protected	fft_rtc_back_len1716_factors_13_2_6_11_wgs_156_tpt_156_dp_ip_CI_unitstride_sbrr_C2R_dirReg ; -- Begin function fft_rtc_back_len1716_factors_13_2_6_11_wgs_156_tpt_156_dp_ip_CI_unitstride_sbrr_C2R_dirReg
	.globl	fft_rtc_back_len1716_factors_13_2_6_11_wgs_156_tpt_156_dp_ip_CI_unitstride_sbrr_C2R_dirReg
	.p2align	8
	.type	fft_rtc_back_len1716_factors_13_2_6_11_wgs_156_tpt_156_dp_ip_CI_unitstride_sbrr_C2R_dirReg,@function
fft_rtc_back_len1716_factors_13_2_6_11_wgs_156_tpt_156_dp_ip_CI_unitstride_sbrr_C2R_dirReg: ; @fft_rtc_back_len1716_factors_13_2_6_11_wgs_156_tpt_156_dp_ip_CI_unitstride_sbrr_C2R_dirReg
; %bb.0:
	s_clause 0x2
	s_load_dwordx4 s[8:11], s[4:5], 0x0
	s_load_dwordx2 s[2:3], s[4:5], 0x50
	s_load_dwordx2 s[12:13], s[4:5], 0x18
	v_mul_u32_u24_e32 v1, 0x1a5, v0
	v_mov_b32_e32 v3, 0
	v_add_nc_u32_sdwa v5, s6, v1 dst_sel:DWORD dst_unused:UNUSED_PAD src0_sel:DWORD src1_sel:WORD_1
	v_mov_b32_e32 v1, 0
	v_mov_b32_e32 v6, v3
	v_mov_b32_e32 v2, 0
	s_waitcnt lgkmcnt(0)
	v_cmp_lt_u64_e64 s0, s[10:11], 2
	s_and_b32 vcc_lo, exec_lo, s0
	s_cbranch_vccnz .LBB0_8
; %bb.1:
	s_load_dwordx2 s[0:1], s[4:5], 0x10
	v_mov_b32_e32 v1, 0
	s_add_u32 s6, s12, 8
	v_mov_b32_e32 v2, 0
	s_addc_u32 s7, s13, 0
	s_mov_b64 s[16:17], 1
	s_waitcnt lgkmcnt(0)
	s_add_u32 s14, s0, 8
	s_addc_u32 s15, s1, 0
.LBB0_2:                                ; =>This Inner Loop Header: Depth=1
	s_load_dwordx2 s[18:19], s[14:15], 0x0
                                        ; implicit-def: $vgpr7_vgpr8
	s_mov_b32 s0, exec_lo
	s_waitcnt lgkmcnt(0)
	v_or_b32_e32 v4, s19, v6
	v_cmpx_ne_u64_e32 0, v[3:4]
	s_xor_b32 s1, exec_lo, s0
	s_cbranch_execz .LBB0_4
; %bb.3:                                ;   in Loop: Header=BB0_2 Depth=1
	v_cvt_f32_u32_e32 v4, s18
	v_cvt_f32_u32_e32 v7, s19
	s_sub_u32 s0, 0, s18
	s_subb_u32 s20, 0, s19
	v_fmac_f32_e32 v4, 0x4f800000, v7
	v_rcp_f32_e32 v4, v4
	v_mul_f32_e32 v4, 0x5f7ffffc, v4
	v_mul_f32_e32 v7, 0x2f800000, v4
	v_trunc_f32_e32 v7, v7
	v_fmac_f32_e32 v4, 0xcf800000, v7
	v_cvt_u32_f32_e32 v7, v7
	v_cvt_u32_f32_e32 v4, v4
	v_mul_lo_u32 v8, s0, v7
	v_mul_hi_u32 v9, s0, v4
	v_mul_lo_u32 v10, s20, v4
	v_add_nc_u32_e32 v8, v9, v8
	v_mul_lo_u32 v9, s0, v4
	v_add_nc_u32_e32 v8, v8, v10
	v_mul_hi_u32 v10, v4, v9
	v_mul_lo_u32 v11, v4, v8
	v_mul_hi_u32 v12, v4, v8
	v_mul_hi_u32 v13, v7, v9
	v_mul_lo_u32 v9, v7, v9
	v_mul_hi_u32 v14, v7, v8
	v_mul_lo_u32 v8, v7, v8
	v_add_co_u32 v10, vcc_lo, v10, v11
	v_add_co_ci_u32_e32 v11, vcc_lo, 0, v12, vcc_lo
	v_add_co_u32 v9, vcc_lo, v10, v9
	v_add_co_ci_u32_e32 v9, vcc_lo, v11, v13, vcc_lo
	v_add_co_ci_u32_e32 v10, vcc_lo, 0, v14, vcc_lo
	v_add_co_u32 v8, vcc_lo, v9, v8
	v_add_co_ci_u32_e32 v9, vcc_lo, 0, v10, vcc_lo
	v_add_co_u32 v4, vcc_lo, v4, v8
	v_add_co_ci_u32_e32 v7, vcc_lo, v7, v9, vcc_lo
	v_mul_hi_u32 v8, s0, v4
	v_mul_lo_u32 v10, s20, v4
	v_mul_lo_u32 v9, s0, v7
	v_add_nc_u32_e32 v8, v8, v9
	v_mul_lo_u32 v9, s0, v4
	v_add_nc_u32_e32 v8, v8, v10
	v_mul_hi_u32 v10, v4, v9
	v_mul_lo_u32 v11, v4, v8
	v_mul_hi_u32 v12, v4, v8
	v_mul_hi_u32 v13, v7, v9
	v_mul_lo_u32 v9, v7, v9
	v_mul_hi_u32 v14, v7, v8
	v_mul_lo_u32 v8, v7, v8
	v_add_co_u32 v10, vcc_lo, v10, v11
	v_add_co_ci_u32_e32 v11, vcc_lo, 0, v12, vcc_lo
	v_add_co_u32 v9, vcc_lo, v10, v9
	v_add_co_ci_u32_e32 v9, vcc_lo, v11, v13, vcc_lo
	v_add_co_ci_u32_e32 v10, vcc_lo, 0, v14, vcc_lo
	v_add_co_u32 v8, vcc_lo, v9, v8
	v_add_co_ci_u32_e32 v9, vcc_lo, 0, v10, vcc_lo
	v_add_co_u32 v4, vcc_lo, v4, v8
	v_add_co_ci_u32_e32 v11, vcc_lo, v7, v9, vcc_lo
	v_mul_hi_u32 v13, v5, v4
	v_mad_u64_u32 v[9:10], null, v6, v4, 0
	v_mad_u64_u32 v[7:8], null, v5, v11, 0
	;; [unrolled: 1-line block ×3, first 2 shown]
	v_add_co_u32 v4, vcc_lo, v13, v7
	v_add_co_ci_u32_e32 v7, vcc_lo, 0, v8, vcc_lo
	v_add_co_u32 v4, vcc_lo, v4, v9
	v_add_co_ci_u32_e32 v4, vcc_lo, v7, v10, vcc_lo
	v_add_co_ci_u32_e32 v7, vcc_lo, 0, v12, vcc_lo
	v_add_co_u32 v4, vcc_lo, v4, v11
	v_add_co_ci_u32_e32 v9, vcc_lo, 0, v7, vcc_lo
	v_mul_lo_u32 v10, s19, v4
	v_mad_u64_u32 v[7:8], null, s18, v4, 0
	v_mul_lo_u32 v11, s18, v9
	v_sub_co_u32 v7, vcc_lo, v5, v7
	v_add3_u32 v8, v8, v11, v10
	v_sub_nc_u32_e32 v10, v6, v8
	v_subrev_co_ci_u32_e64 v10, s0, s19, v10, vcc_lo
	v_add_co_u32 v11, s0, v4, 2
	v_add_co_ci_u32_e64 v12, s0, 0, v9, s0
	v_sub_co_u32 v13, s0, v7, s18
	v_sub_co_ci_u32_e32 v8, vcc_lo, v6, v8, vcc_lo
	v_subrev_co_ci_u32_e64 v10, s0, 0, v10, s0
	v_cmp_le_u32_e32 vcc_lo, s18, v13
	v_cmp_eq_u32_e64 s0, s19, v8
	v_cndmask_b32_e64 v13, 0, -1, vcc_lo
	v_cmp_le_u32_e32 vcc_lo, s19, v10
	v_cndmask_b32_e64 v14, 0, -1, vcc_lo
	v_cmp_le_u32_e32 vcc_lo, s18, v7
	;; [unrolled: 2-line block ×3, first 2 shown]
	v_cndmask_b32_e64 v15, 0, -1, vcc_lo
	v_cmp_eq_u32_e32 vcc_lo, s19, v10
	v_cndmask_b32_e64 v7, v15, v7, s0
	v_cndmask_b32_e32 v10, v14, v13, vcc_lo
	v_add_co_u32 v13, vcc_lo, v4, 1
	v_add_co_ci_u32_e32 v14, vcc_lo, 0, v9, vcc_lo
	v_cmp_ne_u32_e32 vcc_lo, 0, v10
	v_cndmask_b32_e32 v8, v14, v12, vcc_lo
	v_cndmask_b32_e32 v10, v13, v11, vcc_lo
	v_cmp_ne_u32_e32 vcc_lo, 0, v7
	v_cndmask_b32_e32 v8, v9, v8, vcc_lo
	v_cndmask_b32_e32 v7, v4, v10, vcc_lo
.LBB0_4:                                ;   in Loop: Header=BB0_2 Depth=1
	s_andn2_saveexec_b32 s0, s1
	s_cbranch_execz .LBB0_6
; %bb.5:                                ;   in Loop: Header=BB0_2 Depth=1
	v_cvt_f32_u32_e32 v4, s18
	s_sub_i32 s1, 0, s18
	v_rcp_iflag_f32_e32 v4, v4
	v_mul_f32_e32 v4, 0x4f7ffffe, v4
	v_cvt_u32_f32_e32 v4, v4
	v_mul_lo_u32 v7, s1, v4
	v_mul_hi_u32 v7, v4, v7
	v_add_nc_u32_e32 v4, v4, v7
	v_mul_hi_u32 v4, v5, v4
	v_mul_lo_u32 v7, v4, s18
	v_add_nc_u32_e32 v8, 1, v4
	v_sub_nc_u32_e32 v7, v5, v7
	v_subrev_nc_u32_e32 v9, s18, v7
	v_cmp_le_u32_e32 vcc_lo, s18, v7
	v_cndmask_b32_e32 v7, v7, v9, vcc_lo
	v_cndmask_b32_e32 v4, v4, v8, vcc_lo
	v_cmp_le_u32_e32 vcc_lo, s18, v7
	v_add_nc_u32_e32 v8, 1, v4
	v_cndmask_b32_e32 v7, v4, v8, vcc_lo
	v_mov_b32_e32 v8, v3
.LBB0_6:                                ;   in Loop: Header=BB0_2 Depth=1
	s_or_b32 exec_lo, exec_lo, s0
	s_load_dwordx2 s[0:1], s[6:7], 0x0
	v_mul_lo_u32 v4, v8, s18
	v_mul_lo_u32 v11, v7, s19
	v_mad_u64_u32 v[9:10], null, v7, s18, 0
	s_add_u32 s16, s16, 1
	s_addc_u32 s17, s17, 0
	s_add_u32 s6, s6, 8
	s_addc_u32 s7, s7, 0
	;; [unrolled: 2-line block ×3, first 2 shown]
	v_add3_u32 v4, v10, v11, v4
	v_sub_co_u32 v5, vcc_lo, v5, v9
	v_sub_co_ci_u32_e32 v4, vcc_lo, v6, v4, vcc_lo
	s_waitcnt lgkmcnt(0)
	v_mul_lo_u32 v6, s1, v5
	v_mul_lo_u32 v4, s0, v4
	v_mad_u64_u32 v[1:2], null, s0, v5, v[1:2]
	v_cmp_ge_u64_e64 s0, s[16:17], s[10:11]
	s_and_b32 vcc_lo, exec_lo, s0
	v_add3_u32 v2, v6, v2, v4
	s_cbranch_vccnz .LBB0_9
; %bb.7:                                ;   in Loop: Header=BB0_2 Depth=1
	v_mov_b32_e32 v5, v7
	v_mov_b32_e32 v6, v8
	s_branch .LBB0_2
.LBB0_8:
	v_mov_b32_e32 v8, v6
	v_mov_b32_e32 v7, v5
.LBB0_9:
	s_lshl_b64 s[0:1], s[10:11], 3
	v_mul_hi_u32 v5, 0x1a41a42, v0
	s_add_u32 s0, s12, s0
	s_addc_u32 s1, s13, s1
	s_load_dwordx2 s[0:1], s[0:1], 0x0
	s_load_dwordx2 s[4:5], s[4:5], 0x20
	s_waitcnt lgkmcnt(0)
	v_mul_lo_u32 v3, s0, v8
	v_mul_lo_u32 v4, s1, v7
	v_mad_u64_u32 v[1:2], null, s0, v7, v[1:2]
	v_cmp_gt_u64_e32 vcc_lo, s[4:5], v[7:8]
	v_add3_u32 v2, v4, v2, v3
	v_mul_u32_u24_e32 v3, 0x9c, v5
	v_lshlrev_b64 v[62:63], 4, v[1:2]
	v_sub_nc_u32_e32 v60, v0, v3
	s_and_saveexec_b32 s1, vcc_lo
	s_cbranch_execz .LBB0_13
; %bb.10:
	v_mov_b32_e32 v61, 0
	v_add_co_u32 v0, s0, s2, v62
	v_add_co_ci_u32_e64 v1, s0, s3, v63, s0
	v_lshlrev_b64 v[2:3], 4, v[60:61]
	v_lshl_add_u32 v46, v60, 4, 0
	s_mov_b32 s4, exec_lo
	v_add_co_u32 v26, s0, v0, v2
	v_add_co_ci_u32_e64 v27, s0, v1, v3, s0
	v_add_co_u32 v6, s0, 0x800, v26
	v_add_co_ci_u32_e64 v7, s0, 0, v27, s0
	;; [unrolled: 2-line block ×11, first 2 shown]
	s_clause 0xa
	global_load_dwordx4 v[2:5], v[26:27], off
	global_load_dwordx4 v[6:9], v[6:7], off offset:448
	global_load_dwordx4 v[10:13], v[10:11], off offset:896
	;; [unrolled: 1-line block ×10, first 2 shown]
	s_waitcnt vmcnt(10)
	ds_write_b128 v46, v[2:5]
	s_waitcnt vmcnt(9)
	ds_write_b128 v46, v[6:9] offset:2496
	s_waitcnt vmcnt(8)
	ds_write_b128 v46, v[10:13] offset:4992
	;; [unrolled: 2-line block ×10, first 2 shown]
	v_cmpx_eq_u32_e32 0x9b, v60
	s_cbranch_execz .LBB0_12
; %bb.11:
	v_add_co_u32 v0, s0, 0x6800, v0
	v_add_co_ci_u32_e64 v1, s0, 0, v1, s0
	v_mov_b32_e32 v60, 0x9b
	global_load_dwordx4 v[0:3], v[0:1], off offset:832
	s_waitcnt vmcnt(0)
	ds_write_b128 v61, v[0:3] offset:27456
.LBB0_12:
	s_or_b32 exec_lo, exec_lo, s4
.LBB0_13:
	s_or_b32 exec_lo, exec_lo, s1
	v_lshlrev_b32_e32 v0, 4, v60
	s_waitcnt lgkmcnt(0)
	s_barrier
	buffer_gl0_inv
	s_add_u32 s1, s8, 0x6a70
	v_add_nc_u32_e32 v166, 0, v0
	v_sub_nc_u32_e32 v8, 0, v0
	s_addc_u32 s4, s9, 0
	s_mov_b32 s5, exec_lo
	ds_read_b64 v[4:5], v166
	ds_read_b64 v[6:7], v8 offset:27456
	s_waitcnt lgkmcnt(0)
	v_add_f64 v[0:1], v[4:5], v[6:7]
	v_add_f64 v[2:3], v[4:5], -v[6:7]
	v_cmpx_ne_u32_e32 0, v60
	s_xor_b32 s5, exec_lo, s5
	s_cbranch_execz .LBB0_15
; %bb.14:
	v_mov_b32_e32 v61, 0
	v_add_f64 v[13:14], v[4:5], v[6:7]
	v_add_f64 v[15:16], v[4:5], -v[6:7]
	v_lshlrev_b64 v[0:1], 4, v[60:61]
	v_add_co_u32 v0, s0, s1, v0
	v_add_co_ci_u32_e64 v1, s0, s4, v1, s0
	global_load_dwordx4 v[9:12], v[0:1], off
	ds_read_b64 v[0:1], v8 offset:27464
	ds_read_b64 v[2:3], v166 offset:8
	s_waitcnt lgkmcnt(0)
	v_add_f64 v[4:5], v[0:1], v[2:3]
	v_add_f64 v[0:1], v[2:3], -v[0:1]
	s_waitcnt vmcnt(0)
	v_fma_f64 v[2:3], v[15:16], v[11:12], v[13:14]
	v_fma_f64 v[6:7], -v[15:16], v[11:12], v[13:14]
	v_fma_f64 v[13:14], v[4:5], v[11:12], -v[0:1]
	v_fma_f64 v[11:12], v[4:5], v[11:12], v[0:1]
	v_fma_f64 v[0:1], -v[4:5], v[9:10], v[2:3]
	v_fma_f64 v[4:5], v[4:5], v[9:10], v[6:7]
	v_fma_f64 v[6:7], v[15:16], v[9:10], v[13:14]
	;; [unrolled: 1-line block ×3, first 2 shown]
	ds_write_b128 v8, v[4:7] offset:27456
.LBB0_15:
	s_andn2_saveexec_b32 s0, s5
	s_cbranch_execz .LBB0_17
; %bb.16:
	v_mov_b32_e32 v9, 0
	ds_read_b128 v[4:7], v9 offset:13728
	s_waitcnt lgkmcnt(0)
	v_add_f64 v[4:5], v[4:5], v[4:5]
	v_mul_f64 v[6:7], v[6:7], -2.0
	ds_write_b128 v9, v[4:7] offset:13728
.LBB0_17:
	s_or_b32 exec_lo, exec_lo, s0
	v_add_nc_u32_e32 v64, 0x9c, v60
	v_mov_b32_e32 v65, 0
	v_add_nc_u32_e32 v66, 0x138, v60
	ds_write_b128 v166, v[0:3]
	v_lshlrev_b64 v[4:5], 4, v[64:65]
	v_mov_b32_e32 v67, v65
	v_mov_b32_e32 v68, v65
	;; [unrolled: 1-line block ×3, first 2 shown]
	v_lshlrev_b64 v[9:10], 4, v[66:67]
	v_add_co_u32 v4, s0, s1, v4
	v_add_co_ci_u32_e64 v5, s0, s4, v5, s0
	v_add_nc_u32_e32 v67, 0x1d4, v60
	v_add_co_u32 v9, s0, s1, v9
	global_load_dwordx4 v[4:7], v[4:5], off
	v_add_co_ci_u32_e64 v10, s0, s4, v10, s0
	v_lshlrev_b64 v[13:14], 4, v[67:68]
	v_add_nc_u32_e32 v68, 0x270, v60
	global_load_dwordx4 v[9:12], v[9:10], off
	v_add_co_u32 v13, s0, s1, v13
	v_add_co_ci_u32_e64 v14, s0, s4, v14, s0
	v_lshlrev_b64 v[17:18], 4, v[68:69]
	v_add_nc_u32_e32 v69, 0x30c, v60
	global_load_dwordx4 v[13:16], v[13:14], off
	v_add_co_u32 v21, s0, s1, v17
	v_add_co_ci_u32_e64 v22, s0, s4, v18, s0
	ds_read_b128 v[0:3], v166 offset:2496
	ds_read_b128 v[17:20], v8 offset:24960
	v_cmp_gt_u32_e64 s0, 0x4e, v60
	global_load_dwordx4 v[21:24], v[21:22], off
	s_waitcnt lgkmcnt(0)
	v_add_f64 v[25:26], v[0:1], v[17:18]
	v_add_f64 v[27:28], v[19:20], v[2:3]
	v_add_f64 v[29:30], v[0:1], -v[17:18]
	v_add_f64 v[0:1], v[2:3], -v[19:20]
	s_waitcnt vmcnt(3)
	v_fma_f64 v[2:3], v[29:30], v[6:7], v[25:26]
	v_fma_f64 v[17:18], v[27:28], v[6:7], v[0:1]
	v_fma_f64 v[19:20], -v[29:30], v[6:7], v[25:26]
	v_fma_f64 v[6:7], v[27:28], v[6:7], -v[0:1]
	v_fma_f64 v[0:1], -v[27:28], v[4:5], v[2:3]
	v_fma_f64 v[2:3], v[29:30], v[4:5], v[17:18]
	v_fma_f64 v[17:18], v[27:28], v[4:5], v[19:20]
	v_fma_f64 v[19:20], v[29:30], v[4:5], v[6:7]
	ds_write_b128 v166, v[0:3] offset:2496
	ds_write_b128 v8, v[17:20] offset:24960
	ds_read_b128 v[0:3], v166 offset:4992
	ds_read_b128 v[4:7], v8 offset:22464
	s_waitcnt lgkmcnt(0)
	v_add_f64 v[17:18], v[0:1], v[4:5]
	v_add_f64 v[19:20], v[6:7], v[2:3]
	v_add_f64 v[25:26], v[0:1], -v[4:5]
	v_add_f64 v[0:1], v[2:3], -v[6:7]
	s_waitcnt vmcnt(2)
	v_fma_f64 v[2:3], v[25:26], v[11:12], v[17:18]
	v_fma_f64 v[4:5], v[19:20], v[11:12], v[0:1]
	v_fma_f64 v[6:7], -v[25:26], v[11:12], v[17:18]
	v_fma_f64 v[11:12], v[19:20], v[11:12], -v[0:1]
	v_fma_f64 v[0:1], -v[19:20], v[9:10], v[2:3]
	v_fma_f64 v[2:3], v[25:26], v[9:10], v[4:5]
	v_fma_f64 v[4:5], v[19:20], v[9:10], v[6:7]
	v_fma_f64 v[6:7], v[25:26], v[9:10], v[11:12]
	ds_write_b128 v166, v[0:3] offset:4992
	ds_write_b128 v8, v[4:7] offset:22464
	ds_read_b128 v[0:3], v166 offset:7488
	ds_read_b128 v[4:7], v8 offset:19968
	;; [unrolled: 18-line block ×3, first 2 shown]
	s_waitcnt lgkmcnt(0)
	v_add_f64 v[9:10], v[0:1], v[4:5]
	v_add_f64 v[11:12], v[6:7], v[2:3]
	v_add_f64 v[13:14], v[0:1], -v[4:5]
	v_add_f64 v[0:1], v[2:3], -v[6:7]
	s_waitcnt vmcnt(0)
	v_fma_f64 v[2:3], v[13:14], v[23:24], v[9:10]
	v_fma_f64 v[4:5], v[11:12], v[23:24], v[0:1]
	v_fma_f64 v[6:7], -v[13:14], v[23:24], v[9:10]
	v_fma_f64 v[9:10], v[11:12], v[23:24], -v[0:1]
	v_fma_f64 v[0:1], -v[11:12], v[21:22], v[2:3]
	v_fma_f64 v[2:3], v[13:14], v[21:22], v[4:5]
	v_fma_f64 v[4:5], v[11:12], v[21:22], v[6:7]
	;; [unrolled: 1-line block ×3, first 2 shown]
	ds_write_b128 v166, v[0:3] offset:9984
	ds_write_b128 v8, v[4:7] offset:17472
	s_and_saveexec_b32 s5, s0
	s_cbranch_execz .LBB0_19
; %bb.18:
	v_mov_b32_e32 v70, v65
	v_lshlrev_b64 v[0:1], 4, v[69:70]
	v_add_co_u32 v0, s1, s1, v0
	v_add_co_ci_u32_e64 v1, s1, s4, v1, s1
	global_load_dwordx4 v[0:3], v[0:1], off
	ds_read_b128 v[4:7], v166 offset:12480
	ds_read_b128 v[9:12], v8 offset:14976
	s_waitcnt lgkmcnt(0)
	v_add_f64 v[13:14], v[4:5], v[9:10]
	v_add_f64 v[15:16], v[11:12], v[6:7]
	v_add_f64 v[17:18], v[4:5], -v[9:10]
	v_add_f64 v[4:5], v[6:7], -v[11:12]
	s_waitcnt vmcnt(0)
	v_fma_f64 v[6:7], v[17:18], v[2:3], v[13:14]
	v_fma_f64 v[9:10], v[15:16], v[2:3], v[4:5]
	v_fma_f64 v[11:12], -v[17:18], v[2:3], v[13:14]
	v_fma_f64 v[13:14], v[15:16], v[2:3], -v[4:5]
	v_fma_f64 v[2:3], -v[15:16], v[0:1], v[6:7]
	v_fma_f64 v[4:5], v[17:18], v[0:1], v[9:10]
	v_fma_f64 v[9:10], v[15:16], v[0:1], v[11:12]
	;; [unrolled: 1-line block ×3, first 2 shown]
	ds_write_b128 v166, v[2:5] offset:12480
	ds_write_b128 v8, v[9:12] offset:14976
.LBB0_19:
	s_or_b32 exec_lo, exec_lo, s5
	s_waitcnt lgkmcnt(0)
	s_barrier
	buffer_gl0_inv
	s_barrier
	buffer_gl0_inv
	ds_read_b128 v[8:11], v166 offset:25344
	ds_read_b128 v[56:59], v166 offset:2112
	;; [unrolled: 1-line block ×4, first 2 shown]
	ds_read_b128 v[24:27], v166
	s_mov_b32 s4, 0x1ea71119
	s_mov_b32 s10, 0x42a4c3d2
	;; [unrolled: 1-line block ×8, first 2 shown]
	ds_read_b128 v[36:39], v166 offset:6336
	ds_read_b128 v[52:55], v166 offset:8448
	;; [unrolled: 1-line block ×4, first 2 shown]
	s_mov_b32 s6, 0xb2365da1
	s_mov_b32 s22, 0x2ef20147
	s_mov_b32 s14, 0x93053d00
	s_mov_b32 s18, 0x4bc48dbf
	s_waitcnt lgkmcnt(7)
	v_add_f64 v[148:149], v[58:59], -v[10:11]
	v_add_f64 v[130:131], v[58:59], v[10:11]
	s_waitcnt lgkmcnt(5)
	v_add_f64 v[78:79], v[34:35], -v[14:15]
	v_add_f64 v[70:71], v[34:35], v[14:15]
	v_add_f64 v[152:153], v[56:57], v[8:9]
	v_add_f64 v[160:161], v[56:57], -v[8:9]
	s_mov_b32 s7, 0xbfd6b1d8
	s_mov_b32 s23, 0xbfedeba7
	;; [unrolled: 1-line block ×4, first 2 shown]
	v_add_f64 v[96:97], v[32:33], v[12:13]
	v_add_f64 v[140:141], v[32:33], -v[12:13]
	s_mov_b32 s35, 0x3fedeba7
	s_mov_b32 s34, s22
	s_waitcnt lgkmcnt(1)
	v_add_f64 v[110:111], v[38:39], -v[18:19]
	v_add_f64 v[80:81], v[38:39], v[18:19]
	v_add_f64 v[88:89], v[36:37], v[16:17]
	v_add_f64 v[134:135], v[36:37], -v[16:17]
	s_waitcnt lgkmcnt(0)
	v_add_f64 v[98:99], v[54:55], -v[22:23]
	v_add_f64 v[72:73], v[54:55], v[22:23]
	ds_read_b128 v[44:47], v166 offset:10560
	ds_read_b128 v[28:31], v166 offset:16896
	s_mov_b32 s16, 0xd0032e0c
	v_mul_f64 v[156:157], v[148:149], s[10:11]
	v_mul_f64 v[158:159], v[130:131], s[4:5]
	;; [unrolled: 1-line block ×8, first 2 shown]
	s_mov_b32 s28, 0x24c2f84
	s_mov_b32 s24, 0xe00740e9
	;; [unrolled: 1-line block ×6, first 2 shown]
	v_mul_f64 v[122:123], v[110:111], s[18:19]
	v_mul_f64 v[132:133], v[80:81], s[14:15]
	;; [unrolled: 1-line block ×4, first 2 shown]
	s_mov_b32 s36, 0x4267c47c
	v_add_f64 v[82:83], v[52:53], v[20:21]
	v_add_f64 v[128:129], v[52:53], -v[20:21]
	s_waitcnt lgkmcnt(0)
	v_add_f64 v[90:91], v[46:47], -v[30:31]
	v_fma_f64 v[0:1], v[152:153], s[4:5], -v[156:157]
	v_fma_f64 v[2:3], v[160:161], s[10:11], v[158:159]
	v_fma_f64 v[4:5], v[152:153], s[12:13], -v[162:163]
	v_fma_f64 v[6:7], v[160:161], s[20:21], v[164:165]
	;; [unrolled: 2-line block ×4, first 2 shown]
	v_add_f64 v[74:75], v[46:47], v[30:31]
	v_mul_f64 v[100:101], v[98:99], s[28:29]
	v_mul_f64 v[112:113], v[72:73], s[16:17]
	v_mul_f64 v[144:145], v[98:99], s[36:37]
	v_mul_f64 v[146:147], v[72:73], s[24:25]
	ds_read_b128 v[48:51], v166 offset:12672
	ds_read_b128 v[40:43], v166 offset:14784
	v_fma_f64 v[94:95], v[88:89], s[14:15], -v[122:123]
	v_fma_f64 v[104:105], v[134:135], s[18:19], v[132:133]
	v_fma_f64 v[108:109], v[88:89], s[6:7], -v[138:139]
	v_fma_f64 v[116:117], v[134:135], s[34:35], v[150:151]
	s_mov_b32 s31, 0x3fefc445
	s_mov_b32 s30, s20
	v_add_f64 v[120:121], v[44:45], -v[28:29]
	v_mul_f64 v[102:103], v[90:91], s[30:31]
	v_add_f64 v[0:1], v[24:25], v[0:1]
	v_add_f64 v[2:3], v[26:27], v[2:3]
	v_add_f64 v[4:5], v[24:25], v[4:5]
	v_add_f64 v[6:7], v[26:27], v[6:7]
	v_mul_f64 v[114:115], v[90:91], s[10:11]
	s_mov_b32 s27, 0xbfe5384d
	s_mov_b32 s26, s28
	s_mov_b32 s33, exec_lo
	v_mul_f64 v[106:107], v[74:75], s[12:13]
	v_mul_f64 v[118:119], v[74:75], s[4:5]
	v_fma_f64 v[167:168], v[82:83], s[16:17], -v[100:101]
	v_fma_f64 v[169:170], v[128:129], s[28:29], v[112:113]
	v_fma_f64 v[171:172], v[82:83], s[24:25], -v[144:145]
	v_fma_f64 v[173:174], v[128:129], s[36:37], v[146:147]
	s_waitcnt lgkmcnt(0)
	v_add_f64 v[124:125], v[48:49], -v[40:41]
	s_barrier
	buffer_gl0_inv
	v_add_f64 v[0:1], v[76:77], v[0:1]
	v_add_f64 v[2:3], v[84:85], v[2:3]
	;; [unrolled: 1-line block ×5, first 2 shown]
	v_add_f64 v[92:93], v[50:51], -v[42:43]
	v_add_f64 v[76:77], v[50:51], v[42:43]
	v_add_f64 v[86:87], v[48:49], v[40:41]
	v_fma_f64 v[177:178], v[120:121], s[30:31], v[106:107]
	v_fma_f64 v[181:182], v[120:121], s[10:11], v[118:119]
	v_add_f64 v[0:1], v[94:95], v[0:1]
	v_add_f64 v[2:3], v[104:105], v[2:3]
	;; [unrolled: 1-line block ×4, first 2 shown]
	v_fma_f64 v[175:176], v[84:85], s[12:13], -v[102:103]
	v_mul_f64 v[94:95], v[92:93], s[36:37]
	v_mul_f64 v[104:105], v[76:77], s[24:25]
	;; [unrolled: 1-line block ×4, first 2 shown]
	v_fma_f64 v[179:180], v[84:85], s[4:5], -v[114:115]
	v_add_f64 v[0:1], v[167:168], v[0:1]
	v_add_f64 v[2:3], v[169:170], v[2:3]
	;; [unrolled: 1-line block ×4, first 2 shown]
	v_fma_f64 v[167:168], v[86:87], s[24:25], -v[94:95]
	v_fma_f64 v[169:170], v[124:125], s[36:37], v[104:105]
	v_fma_f64 v[171:172], v[86:87], s[16:17], -v[108:109]
	v_fma_f64 v[173:174], v[124:125], s[26:27], v[116:117]
	v_add_f64 v[0:1], v[175:176], v[0:1]
	v_add_f64 v[2:3], v[177:178], v[2:3]
	;; [unrolled: 1-line block ×8, first 2 shown]
	v_cmpx_gt_u32_e32 0x84, v60
	s_cbranch_execz .LBB0_21
; %bb.20:
	v_add_f64 v[58:59], v[26:27], v[58:59]
	v_add_f64 v[167:168], v[24:25], v[56:57]
	v_mul_f64 v[171:172], v[160:161], s[18:19]
	v_mul_f64 v[173:174], v[148:149], s[18:19]
	;; [unrolled: 1-line block ×19, first 2 shown]
	s_mov_b32 s37, 0xbfddbe06
	v_add_f64 v[34:35], v[58:59], v[34:35]
	v_add_f64 v[32:33], v[167:168], v[32:33]
	v_fma_f64 v[167:168], v[130:131], s[14:15], v[171:172]
	v_fma_f64 v[225:226], v[152:153], s[14:15], -v[173:174]
	v_fma_f64 v[171:172], v[130:131], s[14:15], -v[171:172]
	v_mul_f64 v[58:59], v[78:79], s[30:31]
	v_fma_f64 v[173:174], v[152:153], s[14:15], v[173:174]
	v_add_f64 v[164:165], v[164:165], -v[177:178]
	v_fma_f64 v[177:178], v[152:153], s[16:17], -v[183:184]
	v_fma_f64 v[229:230], v[130:131], s[16:17], v[179:180]
	v_fma_f64 v[179:180], v[130:131], s[16:17], -v[179:180]
	v_fma_f64 v[231:232], v[70:71], s[24:25], v[185:186]
	v_fma_f64 v[233:234], v[96:97], s[24:25], -v[187:188]
	v_fma_f64 v[185:186], v[70:71], s[24:25], -v[185:186]
	v_mul_f64 v[175:176], v[152:153], s[12:13]
	v_mul_f64 v[189:190], v[160:161], s[22:23]
	;; [unrolled: 1-line block ×6, first 2 shown]
	v_fma_f64 v[183:184], v[152:153], s[16:17], v[183:184]
	s_mov_b32 s39, 0x3fea55e2
	v_add_f64 v[34:35], v[34:35], v[38:39]
	v_add_f64 v[32:33], v[32:33], v[36:37]
	;; [unrolled: 1-line block ×5, first 2 shown]
	s_mov_b32 s38, s10
	v_add_f64 v[173:174], v[24:25], v[173:174]
	v_mul_f64 v[209:210], v[134:135], s[10:11]
	v_mul_f64 v[221:222], v[128:129], s[38:39]
	v_add_f64 v[158:159], v[158:159], -v[169:170]
	v_fma_f64 v[169:170], v[152:153], s[6:7], -v[193:194]
	v_fma_f64 v[225:226], v[80:81], s[16:17], v[205:206]
	v_fma_f64 v[235:236], v[88:89], s[16:17], -v[207:208]
	v_fma_f64 v[205:206], v[80:81], s[16:17], -v[205:206]
	v_add_f64 v[179:180], v[26:27], v[179:180]
	v_mul_f64 v[219:220], v[78:79], s[28:29]
	v_mul_f64 v[223:224], v[98:99], s[38:39]
	v_add_f64 v[162:163], v[175:176], v[162:163]
	v_fma_f64 v[175:176], v[130:131], s[6:7], v[189:190]
	v_fma_f64 v[189:190], v[130:131], s[6:7], -v[189:190]
	v_fma_f64 v[193:194], v[152:153], s[6:7], v[193:194]
	v_fma_f64 v[207:208], v[88:89], s[16:17], v[207:208]
	v_add_f64 v[34:35], v[34:35], v[54:55]
	v_add_f64 v[54:55], v[201:202], v[156:157]
	v_fma_f64 v[156:157], v[96:97], s[24:25], v[187:188]
	v_fma_f64 v[201:202], v[96:97], s[12:13], -v[58:59]
	v_add_f64 v[32:33], v[32:33], v[52:53]
	v_fma_f64 v[187:188], v[70:71], s[12:13], v[203:204]
	v_fma_f64 v[203:204], v[70:71], s[12:13], -v[203:204]
	v_add_f64 v[36:37], v[231:232], v[36:37]
	v_add_f64 v[52:53], v[233:234], v[167:168]
	v_add_f64 v[167:168], v[185:186], v[171:172]
	v_fma_f64 v[58:59], v[96:97], s[12:13], v[58:59]
	v_fma_f64 v[241:242], v[88:89], s[4:5], -v[215:216]
	v_add_f64 v[229:230], v[26:27], v[229:230]
	v_fma_f64 v[171:172], v[70:71], s[16:17], v[217:218]
	v_fma_f64 v[185:186], v[70:71], s[16:17], -v[217:218]
	v_fma_f64 v[217:218], v[130:131], s[24:25], v[160:161]
	v_fma_f64 v[130:131], v[130:131], s[24:25], -v[160:161]
	v_add_f64 v[160:161], v[24:25], v[183:184]
	v_fma_f64 v[183:184], v[152:153], s[24:25], -v[148:149]
	v_fma_f64 v[148:149], v[152:153], s[24:25], v[148:149]
	s_mov_b32 s41, 0x3fcea1e5
	s_mov_b32 s40, s18
	v_add_f64 v[34:35], v[34:35], v[46:47]
	v_add_f64 v[46:47], v[24:25], v[177:178]
	;; [unrolled: 1-line block ×3, first 2 shown]
	v_mul_f64 v[38:39], v[128:129], s[40:41]
	v_add_f64 v[32:33], v[32:33], v[44:45]
	v_mul_f64 v[227:228], v[98:99], s[40:41]
	v_fma_f64 v[237:238], v[80:81], s[4:5], v[209:210]
	v_fma_f64 v[209:210], v[80:81], s[4:5], -v[209:210]
	v_fma_f64 v[152:153], v[72:73], s[4:5], v[221:222]
	v_fma_f64 v[221:222], v[72:73], s[4:5], -v[221:222]
	v_add_f64 v[36:37], v[225:226], v[36:37]
	v_add_f64 v[44:45], v[235:236], v[52:53]
	;; [unrolled: 1-line block ×5, first 2 shown]
	v_mul_f64 v[211:212], v[120:121], s[22:23]
	v_mul_f64 v[213:214], v[90:91], s[22:23]
	v_fma_f64 v[177:178], v[96:97], s[16:17], -v[219:220]
	v_fma_f64 v[231:232], v[82:83], s[4:5], -v[223:224]
	v_fma_f64 v[223:224], v[82:83], s[4:5], v[223:224]
	v_add_f64 v[173:174], v[187:188], v[229:230]
	v_add_f64 v[179:180], v[24:25], v[193:194]
	;; [unrolled: 1-line block ×17, first 2 shown]
	v_fma_f64 v[215:216], v[88:89], s[4:5], v[215:216]
	v_fma_f64 v[233:234], v[72:73], s[14:15], v[38:39]
	v_add_f64 v[36:37], v[152:153], v[36:37]
	v_add_f64 v[48:49], v[221:222], v[52:53]
	v_fma_f64 v[52:53], v[82:83], s[14:15], -v[227:228]
	v_add_f64 v[152:153], v[209:210], v[169:170]
	v_fma_f64 v[38:39], v[72:73], s[14:15], -v[38:39]
	v_add_f64 v[34:35], v[34:35], v[42:43]
	v_add_f64 v[42:43], v[241:242], v[46:47]
	v_mul_f64 v[46:47], v[140:141], s[18:19]
	v_add_f64 v[148:149], v[237:238], v[173:174]
	v_add_f64 v[44:45], v[231:232], v[44:45]
	v_fma_f64 v[156:157], v[84:85], s[6:7], -v[213:214]
	v_fma_f64 v[169:170], v[74:75], s[6:7], -v[211:212]
	v_add_f64 v[50:51], v[171:172], v[50:51]
	v_add_f64 v[167:168], v[177:178], v[167:168]
	v_fma_f64 v[173:174], v[80:81], s[24:25], v[197:198]
	v_mul_f64 v[177:178], v[128:129], s[20:21]
	v_add_f64 v[175:176], v[185:186], v[175:176]
	v_fma_f64 v[185:186], v[80:81], s[24:25], -v[197:198]
	v_add_f64 v[24:25], v[223:224], v[24:25]
	v_fma_f64 v[193:194], v[84:85], s[6:7], v[213:214]
	v_add_f64 v[32:33], v[32:33], v[40:41]
	v_add_f64 v[58:59], v[215:216], v[58:59]
	v_fma_f64 v[171:172], v[82:83], s[14:15], v[227:228]
	v_fma_f64 v[239:240], v[74:75], s[6:7], v[211:212]
	v_fma_f64 v[187:188], v[88:89], s[24:25], -v[199:200]
	v_mul_f64 v[189:190], v[98:99], s[20:21]
	v_add_f64 v[38:39], v[38:39], v[152:153]
	v_mul_f64 v[152:153], v[96:97], s[14:15]
	v_add_f64 v[42:43], v[52:53], v[42:43]
	v_add_f64 v[40:41], v[154:155], -v[46:47]
	v_fma_f64 v[52:53], v[74:75], s[24:25], -v[191:192]
	v_fma_f64 v[154:155], v[84:85], s[24:25], v[195:196]
	v_add_f64 v[44:45], v[156:157], v[44:45]
	v_add_f64 v[48:49], v[169:170], v[48:49]
	v_mul_f64 v[78:79], v[78:79], s[10:11]
	v_mul_f64 v[201:202], v[134:135], s[34:35]
	v_add_f64 v[50:51], v[173:174], v[50:51]
	v_fma_f64 v[156:157], v[72:73], s[12:13], v[177:178]
	v_fma_f64 v[173:174], v[72:73], s[12:13], -v[177:178]
	v_add_f64 v[169:170], v[185:186], v[175:176]
	v_mul_f64 v[177:178], v[140:141], s[22:23]
	v_add_f64 v[175:176], v[193:194], v[24:25]
	v_fma_f64 v[24:25], v[96:97], s[16:17], v[219:220]
	v_mul_f64 v[140:141], v[140:141], s[10:11]
	v_add_f64 v[58:59], v[171:172], v[58:59]
	v_add_f64 v[36:37], v[239:240], v[36:37]
	;; [unrolled: 1-line block ×3, first 2 shown]
	v_fma_f64 v[171:172], v[82:83], s[12:13], -v[189:190]
	v_add_f64 v[30:31], v[34:35], v[30:31]
	v_add_f64 v[142:143], v[152:153], v[142:143]
	v_mul_f64 v[152:153], v[96:97], s[6:7]
	v_add_f64 v[40:41], v[40:41], v[164:165]
	v_mul_f64 v[164:165], v[124:125], s[30:31]
	;; [unrolled: 2-line block ×3, first 2 shown]
	v_add_f64 v[28:29], v[32:33], v[28:29]
	v_fma_f64 v[32:33], v[96:97], s[4:5], v[78:79]
	v_mul_f64 v[34:35], v[134:135], s[20:21]
	v_mul_f64 v[110:111], v[110:111], s[20:21]
	v_add_f64 v[50:51], v[156:157], v[50:51]
	v_mul_f64 v[156:157], v[134:135], s[18:19]
	v_fma_f64 v[46:47], v[84:85], s[24:25], -v[195:196]
	v_add_f64 v[150:151], v[150:151], -v[201:202]
	v_add_f64 v[169:170], v[173:174], v[169:170]
	v_add_f64 v[179:180], v[24:25], v[179:180]
	v_add_f64 v[24:25], v[136:137], -v[177:178]
	v_add_f64 v[58:59], v[154:155], v[58:59]
	v_mul_f64 v[154:155], v[88:89], s[14:15]
	v_mul_f64 v[173:174], v[128:129], s[28:29]
	v_add_f64 v[167:168], v[171:172], v[167:168]
	v_mul_f64 v[171:172], v[82:83], s[16:17]
	v_mul_f64 v[128:129], v[128:129], s[22:23]
	v_add_f64 v[126:127], v[152:153], v[126:127]
	v_mul_f64 v[98:99], v[98:99], s[22:23]
	v_fma_f64 v[136:137], v[76:77], s[12:13], v[164:165]
	v_add_f64 v[22:23], v[30:31], v[22:23]
	v_add_f64 v[52:53], v[52:53], v[138:139]
	v_add_f64 v[138:139], v[142:143], v[160:161]
	v_fma_f64 v[142:143], v[70:71], s[4:5], -v[140:141]
	v_fma_f64 v[70:71], v[70:71], s[4:5], v[140:141]
	v_add_f64 v[32:33], v[32:33], v[130:131]
	v_fma_f64 v[130:131], v[80:81], s[12:13], -v[34:35]
	v_add_f64 v[132:133], v[132:133], -v[156:157]
	v_add_f64 v[42:43], v[46:47], v[42:43]
	v_mul_f64 v[46:47], v[82:83], s[24:25]
	v_fma_f64 v[34:35], v[80:81], s[12:13], v[34:35]
	v_add_f64 v[20:21], v[28:29], v[20:21]
	v_add_f64 v[158:159], v[24:25], v[158:159]
	v_mul_f64 v[185:186], v[84:85], s[12:13]
	v_add_f64 v[146:147], v[146:147], -v[181:182]
	v_mul_f64 v[181:182], v[120:121], s[30:31]
	v_add_f64 v[40:41], v[150:151], v[40:41]
	v_mul_f64 v[160:161], v[120:121], s[10:11]
	v_add_f64 v[112:113], v[112:113], -v[173:174]
	v_add_f64 v[54:55], v[126:127], v[54:55]
	v_add_f64 v[100:101], v[171:172], v[100:101]
	;; [unrolled: 1-line block ×3, first 2 shown]
	v_fma_f64 v[36:37], v[96:97], s[4:5], -v[78:79]
	v_add_f64 v[96:97], v[154:155], v[122:123]
	v_fma_f64 v[154:155], v[88:89], s[12:13], v[110:111]
	v_add_f64 v[26:27], v[142:143], v[26:27]
	v_add_f64 v[70:71], v[70:71], v[162:163]
	v_fma_f64 v[162:163], v[88:89], s[24:25], v[199:200]
	v_fma_f64 v[88:89], v[88:89], s[12:13], -v[110:111]
	v_mul_f64 v[78:79], v[120:121], s[40:41]
	v_mul_f64 v[142:143], v[90:91], s[40:41]
	;; [unrolled: 1-line block ×4, first 2 shown]
	v_fma_f64 v[171:172], v[72:73], s[6:7], -v[128:129]
	v_add_f64 v[132:133], v[132:133], v[158:159]
	v_mul_f64 v[150:151], v[84:85], s[4:5]
	v_add_f64 v[46:47], v[46:47], v[144:145]
	v_fma_f64 v[72:73], v[72:73], s[6:7], v[128:129]
	v_mul_f64 v[134:135], v[86:87], s[24:25]
	v_add_f64 v[18:19], v[22:23], v[18:19]
	v_add_f64 v[16:17], v[20:21], v[16:17]
	v_mul_f64 v[144:145], v[92:93], s[30:31]
	v_mul_f64 v[152:153], v[124:125], s[22:23]
	;; [unrolled: 1-line block ×3, first 2 shown]
	v_add_f64 v[36:37], v[36:37], v[183:184]
	v_add_f64 v[30:31], v[96:97], v[54:55]
	;; [unrolled: 1-line block ×4, first 2 shown]
	v_fma_f64 v[130:131], v[82:83], s[6:7], v[98:99]
	v_add_f64 v[32:33], v[52:53], v[138:139]
	v_fma_f64 v[183:184], v[82:83], s[12:13], v[189:190]
	v_add_f64 v[52:53], v[162:163], v[179:180]
	v_add_f64 v[34:35], v[34:35], v[70:71]
	v_fma_f64 v[70:71], v[82:83], s[6:7], -v[98:99]
	v_mul_f64 v[177:178], v[124:125], s[26:27]
	v_fma_f64 v[136:137], v[76:77], s[12:13], -v[164:165]
	v_mul_f64 v[110:111], v[124:125], s[38:39]
	v_fma_f64 v[164:165], v[74:75], s[14:15], v[78:79]
	v_mul_f64 v[173:174], v[92:93], s[38:39]
	v_fma_f64 v[78:79], v[74:75], s[14:15], -v[78:79]
	v_add_f64 v[96:97], v[118:119], -v[160:161]
	v_add_f64 v[40:41], v[146:147], v[40:41]
	v_add_f64 v[82:83], v[106:107], -v[181:182]
	v_add_f64 v[98:99], v[185:186], v[102:103]
	v_mul_f64 v[102:103], v[124:125], s[18:19]
	v_mul_f64 v[92:93], v[92:93], s[18:19]
	v_add_f64 v[36:37], v[88:89], v[36:37]
	v_add_f64 v[88:89], v[112:113], v[132:133]
	v_fma_f64 v[106:107], v[74:75], s[16:17], -v[120:121]
	v_add_f64 v[26:27], v[171:172], v[26:27]
	v_fma_f64 v[112:113], v[84:85], s[16:17], v[90:91]
	v_add_f64 v[20:21], v[130:131], v[28:29]
	v_add_f64 v[22:23], v[100:101], v[30:31]
	v_mul_f64 v[156:157], v[86:87], s[16:17]
	v_add_f64 v[114:115], v[150:151], v[114:115]
	v_add_f64 v[28:29], v[46:47], v[32:33]
	v_fma_f64 v[54:55], v[84:85], s[14:15], v[142:143]
	v_add_f64 v[30:31], v[183:184], v[52:53]
	v_add_f64 v[148:149], v[233:234], v[148:149]
	v_fma_f64 v[197:198], v[74:75], s[24:25], v[191:192]
	v_fma_f64 v[158:159], v[84:85], s[14:15], -v[142:143]
	v_fma_f64 v[74:75], v[74:75], s[16:17], v[120:121]
	v_add_f64 v[34:35], v[72:73], v[34:35]
	v_fma_f64 v[72:73], v[84:85], s[16:17], -v[90:91]
	v_add_f64 v[84:85], v[134:135], v[94:95]
	v_add_f64 v[94:95], v[18:19], v[14:15]
	;; [unrolled: 1-line block ×3, first 2 shown]
	v_fma_f64 v[126:127], v[76:77], s[6:7], v[152:153]
	v_add_f64 v[36:37], v[70:71], v[36:37]
	v_fma_f64 v[152:153], v[76:77], s[6:7], -v[152:153]
	v_fma_f64 v[32:33], v[76:77], s[4:5], -v[110:111]
	v_add_f64 v[46:47], v[78:79], v[169:170]
	v_add_f64 v[78:79], v[116:117], -v[177:178]
	v_add_f64 v[40:41], v[96:97], v[40:41]
	v_add_f64 v[82:83], v[82:83], v[88:89]
	v_fma_f64 v[88:89], v[76:77], s[14:15], -v[102:103]
	v_add_f64 v[26:27], v[106:107], v[26:27]
	v_fma_f64 v[90:91], v[86:87], s[14:15], v[92:93]
	v_add_f64 v[20:21], v[112:113], v[20:21]
	v_add_f64 v[56:57], v[104:105], -v[56:57]
	v_add_f64 v[96:97], v[98:99], v[22:23]
	v_add_f64 v[70:71], v[156:157], v[108:109]
	;; [unrolled: 1-line block ×3, first 2 shown]
	v_fma_f64 v[52:53], v[86:87], s[4:5], v[173:174]
	v_add_f64 v[54:55], v[54:55], v[30:31]
	v_fma_f64 v[80:81], v[86:87], s[6:7], -v[140:141]
	v_fma_f64 v[140:141], v[86:87], s[6:7], v[140:141]
	v_fma_f64 v[122:123], v[86:87], s[12:13], -v[144:145]
	v_fma_f64 v[144:145], v[86:87], s[12:13], v[144:145]
	v_add_f64 v[148:149], v[197:198], v[148:149]
	v_fma_f64 v[100:101], v[76:77], s[4:5], v[110:111]
	v_add_f64 v[50:51], v[164:165], v[50:51]
	v_fma_f64 v[104:105], v[86:87], s[4:5], -v[173:174]
	v_add_f64 v[106:107], v[158:159], v[167:168]
	v_fma_f64 v[76:77], v[76:77], s[14:15], v[102:103]
	v_add_f64 v[74:75], v[74:75], v[34:35]
	v_fma_f64 v[86:87], v[86:87], s[14:15], -v[92:93]
	v_add_f64 v[72:73], v[72:73], v[36:37]
	v_add_f64 v[10:11], v[94:95], v[10:11]
	;; [unrolled: 1-line block ×21, first 2 shown]
	v_mad_u32_u24 v20, 0xc0, v60, v166
	v_add_f64 v[50:51], v[86:87], v[72:73]
	ds_write_b128 v20, v[8:11]
	ds_write_b128 v20, v[38:41] offset:16
	ds_write_b128 v20, v[34:37] offset:32
	;; [unrolled: 1-line block ×12, first 2 shown]
.LBB0_21:
	s_or_b32 exec_lo, exec_lo, s33
	s_waitcnt lgkmcnt(0)
	s_barrier
	buffer_gl0_inv
	ds_read_b128 v[16:19], v166
	ds_read_b128 v[24:27], v166 offset:2496
	ds_read_b128 v[8:11], v166 offset:16224
	ds_read_b128 v[12:15], v166 offset:18720
	ds_read_b128 v[32:35], v166 offset:4992
	ds_read_b128 v[28:31], v166 offset:7488
	ds_read_b128 v[44:47], v166 offset:13728
	ds_read_b128 v[36:39], v166 offset:9984
	ds_read_b128 v[40:43], v166 offset:21216
	ds_read_b128 v[20:23], v166 offset:23712
	s_and_saveexec_b32 s1, s0
	s_cbranch_execz .LBB0_23
; %bb.22:
	ds_read_b128 v[0:3], v166 offset:12480
	ds_read_b128 v[4:7], v166 offset:26208
.LBB0_23:
	s_or_b32 exec_lo, exec_lo, s1
	v_and_b32_e32 v48, 0xff, v60
	v_mov_b32_e32 v50, 0x4ec5
	v_mov_b32_e32 v49, 4
	v_mul_lo_u16 v48, 0x4f, v48
	v_mul_u32_u24_sdwa v51, v64, v50 dst_sel:DWORD dst_unused:UNUSED_PAD src0_sel:WORD_0 src1_sel:DWORD
	v_mul_u32_u24_sdwa v52, v66, v50 dst_sel:DWORD dst_unused:UNUSED_PAD src0_sel:WORD_0 src1_sel:DWORD
	;; [unrolled: 1-line block ×4, first 2 shown]
	v_lshrrev_b16 v61, 10, v48
	v_mul_u32_u24_sdwa v50, v69, v50 dst_sel:DWORD dst_unused:UNUSED_PAD src0_sel:WORD_0 src1_sel:DWORD
	v_lshrrev_b32_e32 v93, 18, v51
	v_lshrrev_b32_e32 v94, 18, v52
	;; [unrolled: 1-line block ×4, first 2 shown]
	v_mul_lo_u16 v51, v61, 13
	v_lshrrev_b32_e32 v50, 18, v50
	v_mul_lo_u16 v52, v93, 13
	v_mul_lo_u16 v53, v94, 13
	;; [unrolled: 1-line block ×4, first 2 shown]
	v_sub_nc_u16 v51, v60, v51
	v_mul_lo_u16 v56, v50, 13
	v_sub_nc_u16 v52, v64, v52
	v_sub_nc_u16 v53, v66, v53
	;; [unrolled: 1-line block ×3, first 2 shown]
	v_lshlrev_b32_sdwa v97, v49, v51 dst_sel:DWORD dst_unused:UNUSED_PAD src0_sel:DWORD src1_sel:BYTE_0
	v_sub_nc_u16 v51, v68, v55
	v_sub_nc_u16 v69, v69, v56
	v_lshlrev_b32_sdwa v98, v49, v52 dst_sel:DWORD dst_unused:UNUSED_PAD src0_sel:DWORD src1_sel:WORD_0
	v_lshlrev_b32_sdwa v99, v49, v53 dst_sel:DWORD dst_unused:UNUSED_PAD src0_sel:DWORD src1_sel:WORD_0
	;; [unrolled: 1-line block ×5, first 2 shown]
	s_clause 0x5
	global_load_dwordx4 v[52:55], v97, s[8:9]
	global_load_dwordx4 v[56:59], v98, s[8:9]
	;; [unrolled: 1-line block ×6, first 2 shown]
	s_waitcnt vmcnt(0) lgkmcnt(0)
	s_barrier
	buffer_gl0_inv
	v_mul_f64 v[81:82], v[46:47], v[54:55]
	v_mul_f64 v[54:55], v[44:45], v[54:55]
	;; [unrolled: 1-line block ×12, first 2 shown]
	v_fma_f64 v[44:45], v[44:45], v[52:53], v[81:82]
	v_fma_f64 v[46:47], v[46:47], v[52:53], -v[54:55]
	v_fma_f64 v[8:9], v[8:9], v[56:57], v[83:84]
	v_fma_f64 v[10:11], v[10:11], v[56:57], -v[58:59]
	;; [unrolled: 2-line block ×6, first 2 shown]
	v_mul_u32_u24_e32 v65, 0x1a0, v93
	v_add_f64 v[40:41], v[16:17], -v[44:45]
	v_add_f64 v[42:43], v[18:19], -v[46:47]
	;; [unrolled: 1-line block ×12, first 2 shown]
	v_mov_b32_e32 v4, 0x1a0
	v_mul_u32_u24_sdwa v61, v61, v4 dst_sel:DWORD dst_unused:UNUSED_PAD src0_sel:WORD_0 src1_sel:DWORD
	v_fma_f64 v[56:57], v[16:17], 2.0, -v[40:41]
	v_fma_f64 v[58:59], v[18:19], 2.0, -v[42:43]
	;; [unrolled: 1-line block ×12, first 2 shown]
	v_mul_u32_u24_e32 v28, 0x1a0, v94
	v_mul_u32_u24_e32 v29, 0x1a0, v95
	;; [unrolled: 1-line block ×3, first 2 shown]
	v_add3_u32 v31, 0, v61, v97
	v_add3_u32 v36, 0, v65, v98
	;; [unrolled: 1-line block ×5, first 2 shown]
	ds_write_b128 v31, v[40:43] offset:208
	ds_write_b128 v31, v[56:59]
	ds_write_b128 v36, v[24:27]
	ds_write_b128 v36, v[44:47] offset:208
	ds_write_b128 v28, v[32:35]
	ds_write_b128 v28, v[52:55] offset:208
	;; [unrolled: 2-line block ×4, first 2 shown]
	s_and_saveexec_b32 s1, s0
	s_cbranch_execz .LBB0_25
; %bb.24:
	v_mul_lo_u16 v24, v50, 26
	v_lshlrev_b32_sdwa v24, v49, v24 dst_sel:DWORD dst_unused:UNUSED_PAD src0_sel:DWORD src1_sel:WORD_0
	v_add3_u32 v24, 0, v51, v24
	ds_write_b128 v24, v[0:3]
	ds_write_b128 v24, v[20:23] offset:208
.LBB0_25:
	s_or_b32 exec_lo, exec_lo, s1
	s_waitcnt lgkmcnt(0)
	s_barrier
	buffer_gl0_inv
	ds_read_b128 v[24:27], v166
	ds_read_b128 v[28:31], v166 offset:4576
	ds_read_b128 v[32:35], v166 offset:9152
	;; [unrolled: 1-line block ×5, first 2 shown]
	v_cmp_gt_u32_e64 s0, 0x82, v60
	s_and_saveexec_b32 s1, s0
	s_cbranch_execz .LBB0_27
; %bb.26:
	ds_read_b128 v[4:7], v166 offset:2496
	ds_read_b128 v[8:11], v166 offset:7072
	;; [unrolled: 1-line block ×6, first 2 shown]
.LBB0_27:
	s_or_b32 exec_lo, exec_lo, s1
	v_lshrrev_b16 v59, 11, v48
	v_mov_b32_e32 v48, 5
	s_mov_b32 s4, 0xe8584caa
	s_mov_b32 s5, 0xbfebb67a
	;; [unrolled: 1-line block ×3, first 2 shown]
	v_mul_lo_u16 v49, v59, 26
	s_mov_b32 s6, s4
	v_sub_nc_u16 v61, v60, v49
	v_mul_u32_u24_sdwa v49, v61, v48 dst_sel:DWORD dst_unused:UNUSED_PAD src0_sel:BYTE_0 src1_sel:DWORD
	v_lshlrev_b32_e32 v57, 4, v49
	s_clause 0x4
	global_load_dwordx4 v[49:52], v57, s[8:9] offset:240
	global_load_dwordx4 v[53:56], v57, s[8:9] offset:272
	global_load_dwordx4 v[65:68], v57, s[8:9] offset:208
	global_load_dwordx4 v[69:72], v57, s[8:9] offset:224
	global_load_dwordx4 v[73:76], v57, s[8:9] offset:256
	s_waitcnt vmcnt(0) lgkmcnt(0)
	s_barrier
	buffer_gl0_inv
	v_mul_f64 v[57:58], v[40:41], v[51:52]
	v_mul_f64 v[77:78], v[44:45], v[55:56]
	;; [unrolled: 1-line block ×5, first 2 shown]
	v_fma_f64 v[42:43], v[42:43], v[49:50], -v[57:58]
	v_fma_f64 v[46:47], v[46:47], v[53:54], -v[77:78]
	v_mul_f64 v[57:58], v[30:31], v[67:68]
	v_mul_f64 v[67:68], v[34:35], v[71:72]
	;; [unrolled: 1-line block ×5, first 2 shown]
	v_fma_f64 v[40:41], v[40:41], v[49:50], v[51:52]
	v_fma_f64 v[44:45], v[44:45], v[53:54], v[55:56]
	v_fma_f64 v[30:31], v[30:31], v[65:66], -v[79:80]
	v_add_f64 v[49:50], v[42:43], v[46:47]
	v_fma_f64 v[28:29], v[28:29], v[65:66], v[57:58]
	v_fma_f64 v[32:33], v[32:33], v[69:70], v[67:68]
	v_fma_f64 v[34:35], v[34:35], v[69:70], -v[71:72]
	v_fma_f64 v[36:37], v[36:37], v[73:74], v[77:78]
	v_fma_f64 v[38:39], v[38:39], v[73:74], -v[75:76]
	v_add_f64 v[65:66], v[42:43], -v[46:47]
	v_add_f64 v[51:52], v[40:41], v[44:45]
	v_add_f64 v[53:54], v[40:41], -v[44:45]
	v_fma_f64 v[49:50], v[49:50], -0.5, v[30:31]
	v_add_f64 v[30:31], v[30:31], v[42:43]
	v_add_f64 v[55:56], v[32:33], v[36:37]
	;; [unrolled: 1-line block ×3, first 2 shown]
	v_add_f64 v[69:70], v[34:35], -v[38:39]
	v_fma_f64 v[51:52], v[51:52], -0.5, v[28:29]
	v_add_f64 v[34:35], v[26:27], v[34:35]
	v_add_f64 v[28:29], v[28:29], v[40:41]
	v_fma_f64 v[67:68], v[53:54], s[6:7], v[49:50]
	v_fma_f64 v[49:50], v[53:54], s[4:5], v[49:50]
	v_add_f64 v[53:54], v[24:25], v[32:33]
	v_add_f64 v[32:33], v[32:33], -v[36:37]
	v_fma_f64 v[24:25], v[55:56], -0.5, v[24:25]
	v_fma_f64 v[26:27], v[57:58], -0.5, v[26:27]
	v_fma_f64 v[40:41], v[65:66], s[4:5], v[51:52]
	v_fma_f64 v[42:43], v[65:66], s[6:7], v[51:52]
	v_add_f64 v[34:35], v[34:35], v[38:39]
	v_add_f64 v[38:39], v[28:29], v[44:45]
	;; [unrolled: 1-line block ×3, first 2 shown]
	v_mul_f64 v[51:52], v[67:68], s[4:5]
	v_mul_f64 v[57:58], v[67:68], 0.5
	v_mul_f64 v[55:56], v[49:50], s[4:5]
	v_mul_f64 v[49:50], v[49:50], -0.5
	v_add_f64 v[36:37], v[53:54], v[36:37]
	v_fma_f64 v[46:47], v[69:70], s[4:5], v[24:25]
	v_fma_f64 v[65:66], v[32:33], s[6:7], v[26:27]
	;; [unrolled: 1-line block ×4, first 2 shown]
	v_mov_b32_e32 v24, 4
	v_add_f64 v[27:28], v[34:35], v[44:45]
	v_add_f64 v[31:32], v[34:35], -v[44:45]
	v_mov_b32_e32 v45, 0x9c0
	v_mul_u32_u24_sdwa v45, v59, v45 dst_sel:DWORD dst_unused:UNUSED_PAD src0_sel:WORD_0 src1_sel:DWORD
	v_fma_f64 v[51:52], v[40:41], 0.5, v[51:52]
	v_fma_f64 v[57:58], v[40:41], s[6:7], v[57:58]
	v_fma_f64 v[55:56], v[42:43], -0.5, v[55:56]
	v_fma_f64 v[69:70], v[42:43], s[6:7], v[49:50]
	v_add_f64 v[25:26], v[36:37], v[38:39]
	v_add_f64 v[29:30], v[36:37], -v[38:39]
	v_add_f64 v[33:34], v[46:47], v[51:52]
	v_add_f64 v[35:36], v[65:66], v[57:58]
	;; [unrolled: 1-line block ×4, first 2 shown]
	v_add_f64 v[41:42], v[46:47], -v[51:52]
	v_add_f64 v[43:44], v[65:66], -v[57:58]
	;; [unrolled: 1-line block ×4, first 2 shown]
	v_lshlrev_b32_sdwa v46, v24, v61 dst_sel:DWORD dst_unused:UNUSED_PAD src0_sel:DWORD src1_sel:BYTE_0
	v_add3_u32 v45, 0, v45, v46
	ds_write_b128 v45, v[25:28]
	ds_write_b128 v45, v[29:32] offset:1248
	ds_write_b128 v45, v[33:36] offset:416
	;; [unrolled: 1-line block ×5, first 2 shown]
	s_and_saveexec_b32 s1, s0
	s_cbranch_execz .LBB0_29
; %bb.28:
	v_mov_b32_e32 v25, 0x4ec5
	v_mul_u32_u24_sdwa v25, v64, v25 dst_sel:DWORD dst_unused:UNUSED_PAD src0_sel:WORD_0 src1_sel:DWORD
	v_lshrrev_b32_e32 v51, 19, v25
	v_mul_lo_u16 v25, v51, 26
	v_sub_nc_u16 v52, v64, v25
	v_mul_u32_u24_sdwa v25, v52, v48 dst_sel:DWORD dst_unused:UNUSED_PAD src0_sel:WORD_0 src1_sel:DWORD
	v_lshlrev_b32_e32 v41, 4, v25
	s_clause 0x4
	global_load_dwordx4 v[25:28], v41, s[8:9] offset:240
	global_load_dwordx4 v[29:32], v41, s[8:9] offset:272
	;; [unrolled: 1-line block ×5, first 2 shown]
	s_waitcnt vmcnt(4)
	v_mul_f64 v[45:46], v[12:13], v[27:28]
	s_waitcnt vmcnt(3)
	v_mul_f64 v[47:48], v[20:21], v[31:32]
	v_mul_f64 v[27:28], v[14:15], v[27:28]
	;; [unrolled: 1-line block ×3, first 2 shown]
	s_waitcnt vmcnt(2)
	v_mul_f64 v[49:50], v[8:9], v[35:36]
	v_mul_f64 v[35:36], v[10:11], v[35:36]
	v_fma_f64 v[14:15], v[14:15], v[25:26], -v[45:46]
	v_fma_f64 v[22:23], v[22:23], v[29:30], -v[47:48]
	s_waitcnt vmcnt(1)
	v_mul_f64 v[45:46], v[16:17], v[39:40]
	s_waitcnt vmcnt(0)
	v_mul_f64 v[47:48], v[0:1], v[43:44]
	v_fma_f64 v[12:13], v[12:13], v[25:26], v[27:28]
	v_fma_f64 v[20:21], v[20:21], v[29:30], v[31:32]
	v_fma_f64 v[10:11], v[10:11], v[33:34], -v[49:50]
	v_mul_f64 v[27:28], v[18:19], v[39:40]
	v_mul_f64 v[29:30], v[2:3], v[43:44]
	v_fma_f64 v[8:9], v[8:9], v[33:34], v[35:36]
	v_add_f64 v[25:26], v[14:15], v[22:23]
	v_fma_f64 v[18:19], v[18:19], v[37:38], -v[45:46]
	v_fma_f64 v[2:3], v[2:3], v[41:42], -v[47:48]
	v_add_f64 v[31:32], v[12:13], v[20:21]
	v_add_f64 v[33:34], v[12:13], -v[20:21]
	v_fma_f64 v[16:17], v[16:17], v[37:38], v[27:28]
	v_fma_f64 v[0:1], v[0:1], v[41:42], v[29:30]
	v_add_f64 v[29:30], v[14:15], -v[22:23]
	v_fma_f64 v[25:26], v[25:26], -0.5, v[10:11]
	v_add_f64 v[39:40], v[6:7], v[18:19]
	v_add_f64 v[27:28], v[18:19], v[2:3]
	;; [unrolled: 1-line block ×3, first 2 shown]
	v_fma_f64 v[31:32], v[31:32], -0.5, v[8:9]
	v_add_f64 v[8:9], v[8:9], v[12:13]
	v_add_f64 v[14:15], v[18:19], -v[2:3]
	v_add_f64 v[37:38], v[16:17], -v[0:1]
	v_fma_f64 v[35:36], v[33:34], s[4:5], v[25:26]
	v_fma_f64 v[25:26], v[33:34], s[6:7], v[25:26]
	v_add_f64 v[33:34], v[16:17], v[0:1]
	v_add_f64 v[16:17], v[4:5], v[16:17]
	v_fma_f64 v[6:7], v[27:28], -0.5, v[6:7]
	v_fma_f64 v[12:13], v[29:30], s[6:7], v[31:32]
	v_fma_f64 v[18:19], v[29:30], s[4:5], v[31:32]
	v_add_f64 v[10:11], v[10:11], v[22:23]
	v_add_f64 v[8:9], v[8:9], v[20:21]
	v_mul_f64 v[27:28], v[35:36], -0.5
	v_mul_f64 v[29:30], v[25:26], 0.5
	v_fma_f64 v[4:5], v[33:34], -0.5, v[4:5]
	v_mul_f64 v[25:26], v[25:26], s[4:5]
	v_mul_f64 v[31:32], v[35:36], s[4:5]
	v_add_f64 v[33:34], v[39:40], v[2:3]
	v_add_f64 v[16:17], v[16:17], v[0:1]
	v_fma_f64 v[20:21], v[37:38], s[4:5], v[6:7]
	v_fma_f64 v[22:23], v[37:38], s[6:7], v[6:7]
	;; [unrolled: 1-line block ×5, first 2 shown]
	v_fma_f64 v[25:26], v[18:19], 0.5, v[25:26]
	v_fma_f64 v[35:36], v[14:15], s[6:7], v[4:5]
	v_fma_f64 v[31:32], v[12:13], -0.5, v[31:32]
	v_add_f64 v[6:7], v[33:34], v[10:11]
	v_add_f64 v[4:5], v[16:17], v[8:9]
	v_add_f64 v[2:3], v[33:34], -v[10:11]
	v_add_f64 v[0:1], v[16:17], -v[8:9]
	;; [unrolled: 1-line block ×4, first 2 shown]
	v_add_f64 v[18:19], v[20:21], v[27:28]
	v_add_f64 v[22:23], v[22:23], v[29:30]
	;; [unrolled: 1-line block ×4, first 2 shown]
	v_add_f64 v[12:13], v[37:38], -v[25:26]
	v_add_f64 v[8:9], v[35:36], -v[31:32]
	v_mul_lo_u16 v25, 0x9c, v51
	v_lshlrev_b32_sdwa v25, v24, v25 dst_sel:DWORD dst_unused:UNUSED_PAD src0_sel:DWORD src1_sel:WORD_0
	v_lshlrev_b32_sdwa v24, v24, v52 dst_sel:DWORD dst_unused:UNUSED_PAD src0_sel:DWORD src1_sel:WORD_0
	v_add3_u32 v24, 0, v24, v25
	ds_write_b128 v24, v[4:7]
	ds_write_b128 v24, v[0:3] offset:1248
	ds_write_b128 v24, v[20:23] offset:416
	;; [unrolled: 1-line block ×5, first 2 shown]
.LBB0_29:
	s_or_b32 exec_lo, exec_lo, s1
	v_mul_u32_u24_e32 v0, 10, v60
	s_waitcnt lgkmcnt(0)
	s_barrier
	buffer_gl0_inv
	s_mov_b32 s6, 0x8764f0ba
	v_lshlrev_b32_e32 v0, 4, v0
	s_mov_b32 s7, 0x3feaeb8c
	s_mov_b32 s12, 0xd9c712b6
	;; [unrolled: 1-line block ×4, first 2 shown]
	v_add_co_u32 v16, s0, s8, v0
	v_add_co_ci_u32_e64 v17, null, s9, 0, s0
	s_mov_b32 s8, 0x8eee2c13
	v_add_co_u32 v0, s0, 0x800, v16
	v_add_co_ci_u32_e64 v1, s0, 0, v17, s0
	v_add_co_u32 v2, s0, 0x970, v16
	v_add_co_ci_u32_e64 v3, s0, 0, v17, s0
	;; [unrolled: 2-line block ×3, first 2 shown]
	s_clause 0x2
	global_load_dwordx4 v[4:7], v[0:1], off offset:240
	global_load_dwordx4 v[8:11], v[2:3], off offset:16
	;; [unrolled: 1-line block ×3, first 2 shown]
	v_add_co_u32 v2, s0, 0x930, v16
	v_add_co_ci_u32_e64 v3, s0, 0, v17, s0
	s_clause 0x6
	global_load_dwordx4 v[16:19], v[0:1], off offset:368
	global_load_dwordx4 v[20:23], v[28:29], off offset:32
	;; [unrolled: 1-line block ×7, first 2 shown]
	ds_read_b128 v[0:3], v166
	ds_read_b128 v[34:37], v166 offset:2496
	ds_read_b128 v[50:53], v166 offset:4992
	;; [unrolled: 1-line block ×10, first 2 shown]
	s_mov_b32 s0, 0xf8bb580b
	s_mov_b32 s1, 0xbfe14ced
	s_mov_b32 s9, 0xbfed1bb4
	s_mov_b32 s18, 0x640f44db
	s_mov_b32 s15, 0xbfefac9e
	s_mov_b32 s19, 0xbfc2375f
	s_mov_b32 s20, 0xbb3a28a1
	s_mov_b32 s24, 0x7f775887
	s_mov_b32 s21, 0xbfe82f19
	s_mov_b32 s25, 0xbfe4f49e
	s_mov_b32 s26, 0xfd768dbf
	s_mov_b32 s30, 0x9bcd5057
	s_mov_b32 s27, 0xbfd207e7
	s_mov_b32 s31, 0xbfeeb42a
	s_mov_b32 s5, 0x3fe14ced
	s_mov_b32 s4, s0
	s_mov_b32 s11, 0x3fed1bb4
	s_mov_b32 s10, s8
	s_mov_b32 s17, 0x3fefac9e
	s_mov_b32 s29, 0x3fd207e7
	s_mov_b32 s16, s14
	s_mov_b32 s28, s26
	s_mov_b32 s23, 0x3fe82f19
	s_mov_b32 s22, s20
	s_waitcnt vmcnt(0) lgkmcnt(0)
	s_barrier
	buffer_gl0_inv
	v_mul_f64 v[28:29], v[36:37], v[6:7]
	v_mul_f64 v[6:7], v[34:35], v[6:7]
	;; [unrolled: 1-line block ×20, first 2 shown]
	v_fma_f64 v[108:109], v[34:35], v[4:5], v[28:29]
	v_fma_f64 v[110:111], v[36:37], v[4:5], -v[6:7]
	v_fma_f64 v[4:5], v[90:91], v[8:9], -v[58:59]
	v_fma_f64 v[50:51], v[50:51], v[12:13], v[92:93]
	v_fma_f64 v[6:7], v[88:89], v[8:9], v[10:11]
	v_fma_f64 v[52:53], v[52:53], v[12:13], -v[14:15]
	v_fma_f64 v[8:9], v[84:85], v[16:17], v[94:95]
	v_fma_f64 v[34:35], v[54:55], v[20:21], v[96:97]
	v_fma_f64 v[36:37], v[56:57], v[20:21], -v[22:23]
	v_fma_f64 v[20:21], v[74:75], v[46:47], -v[106:107]
	v_fma_f64 v[22:23], v[72:73], v[46:47], v[48:49]
	v_fma_f64 v[10:11], v[86:87], v[16:17], -v[18:19]
	v_fma_f64 v[12:13], v[80:81], v[24:25], v[98:99]
	;; [unrolled: 2-line block ×5, first 2 shown]
	v_fma_f64 v[26:27], v[70:71], v[42:43], -v[44:45]
	v_add_f64 v[48:49], v[0:1], v[108:109]
	v_add_f64 v[54:55], v[2:3], v[110:111]
	v_add_f64 v[56:57], v[110:111], -v[4:5]
	v_add_f64 v[58:59], v[110:111], v[4:5]
	v_add_f64 v[40:41], v[108:109], v[6:7]
	v_add_f64 v[42:43], v[108:109], -v[6:7]
	v_add_f64 v[32:33], v[50:51], v[8:9]
	v_add_f64 v[38:39], v[50:51], -v[8:9]
	v_add_f64 v[64:65], v[52:53], -v[10:11]
	v_add_f64 v[44:45], v[34:35], v[12:13]
	v_add_f64 v[68:69], v[36:37], v[14:15]
	v_add_f64 v[46:47], v[34:35], -v[12:13]
	v_add_f64 v[70:71], v[36:37], -v[14:15]
	v_add_f64 v[66:67], v[52:53], v[10:11]
	;; [unrolled: 4-line block ×3, first 2 shown]
	v_add_f64 v[72:73], v[28:29], v[16:17]
	v_add_f64 v[48:49], v[48:49], v[50:51]
	;; [unrolled: 1-line block ×3, first 2 shown]
	v_mul_f64 v[52:53], v[56:57], s[0:1]
	v_mul_f64 v[54:55], v[58:59], s[6:7]
	;; [unrolled: 1-line block ×10, first 2 shown]
	v_add_f64 v[78:79], v[28:29], -v[16:17]
	v_mul_f64 v[100:101], v[64:65], s[8:9]
	v_mul_f64 v[104:105], v[64:65], s[20:21]
	v_add_f64 v[82:83], v[24:25], v[22:23]
	v_mul_f64 v[102:103], v[66:67], s[12:13]
	v_mul_f64 v[106:107], v[66:67], s[24:25]
	v_add_f64 v[86:87], v[24:25], -v[22:23]
	v_mul_f64 v[108:109], v[64:65], s[28:29]
	v_mul_f64 v[110:111], v[66:67], s[30:31]
	;; [unrolled: 1-line block ×3, first 2 shown]
	v_add_f64 v[34:35], v[48:49], v[34:35]
	v_add_f64 v[36:37], v[50:51], v[36:37]
	v_fma_f64 v[48:49], v[40:41], s[6:7], v[52:53]
	v_fma_f64 v[50:51], v[42:43], s[4:5], v[54:55]
	v_fma_f64 v[52:53], v[40:41], s[6:7], -v[52:53]
	v_fma_f64 v[54:55], v[42:43], s[0:1], v[54:55]
	v_fma_f64 v[164:165], v[40:41], s[12:13], v[88:89]
	;; [unrolled: 1-line block ×3, first 2 shown]
	v_mul_f64 v[114:115], v[66:67], s[18:19]
	v_mul_f64 v[64:65], v[64:65], s[4:5]
	;; [unrolled: 1-line block ×14, first 2 shown]
	v_add_f64 v[28:29], v[34:35], v[28:29]
	v_add_f64 v[30:31], v[36:37], v[30:31]
	v_mul_f64 v[134:135], v[74:75], s[24:25]
	v_mul_f64 v[136:137], v[76:77], s[16:17]
	;; [unrolled: 1-line block ×19, first 2 shown]
	v_fma_f64 v[88:89], v[40:41], s[12:13], -v[88:89]
	v_fma_f64 v[169:170], v[40:41], s[18:19], v[92:93]
	v_fma_f64 v[171:172], v[42:43], s[16:17], v[94:95]
	;; [unrolled: 1-line block ×4, first 2 shown]
	v_fma_f64 v[92:93], v[40:41], s[18:19], -v[92:93]
	v_fma_f64 v[96:97], v[40:41], s[24:25], -v[96:97]
	v_fma_f64 v[177:178], v[40:41], s[30:31], v[56:57]
	v_fma_f64 v[179:180], v[42:43], s[28:29], v[58:59]
	;; [unrolled: 1-line block ×5, first 2 shown]
	v_fma_f64 v[40:41], v[40:41], s[30:31], -v[56:57]
	v_fma_f64 v[42:43], v[42:43], s[26:27], v[58:59]
	v_add_f64 v[24:25], v[28:29], v[24:25]
	v_add_f64 v[26:27], v[30:31], v[26:27]
	v_fma_f64 v[56:57], v[32:33], s[12:13], v[100:101]
	v_fma_f64 v[58:59], v[38:39], s[10:11], v[102:103]
	v_add_f64 v[28:29], v[0:1], v[48:49]
	v_add_f64 v[30:31], v[2:3], v[50:51]
	v_fma_f64 v[100:101], v[32:33], s[12:13], -v[100:101]
	v_fma_f64 v[102:103], v[38:39], s[8:9], v[102:103]
	v_fma_f64 v[181:182], v[32:33], s[24:25], v[104:105]
	;; [unrolled: 1-line block ×3, first 2 shown]
	v_add_f64 v[48:49], v[0:1], v[52:53]
	v_add_f64 v[50:51], v[2:3], v[54:55]
	;; [unrolled: 1-line block ×4, first 2 shown]
	v_fma_f64 v[104:105], v[32:33], s[24:25], -v[104:105]
	v_fma_f64 v[106:107], v[38:39], s[20:21], v[106:107]
	v_fma_f64 v[185:186], v[32:33], s[30:31], v[108:109]
	v_fma_f64 v[187:188], v[38:39], s[26:27], v[110:111]
	v_fma_f64 v[108:109], v[32:33], s[30:31], -v[108:109]
	v_fma_f64 v[110:111], v[38:39], s[28:29], v[110:111]
	v_fma_f64 v[189:190], v[32:33], s[18:19], v[112:113]
	v_fma_f64 v[191:192], v[38:39], s[14:15], v[114:115]
	;; [unrolled: 4-line block ×8, first 2 shown]
	v_fma_f64 v[44:45], v[44:45], s[24:25], -v[70:71]
	v_fma_f64 v[46:47], v[46:47], s[20:21], v[68:69]
	v_fma_f64 v[68:69], v[72:73], s[24:25], v[132:133]
	v_fma_f64 v[70:71], v[72:73], s[24:25], -v[132:133]
	v_fma_f64 v[132:133], v[72:73], s[18:19], v[136:137]
	v_fma_f64 v[136:137], v[72:73], s[18:19], -v[136:137]
	;; [unrolled: 2-line block ×5, first 2 shown]
	v_fma_f64 v[76:77], v[78:79], s[22:23], v[134:135]
	v_fma_f64 v[134:135], v[78:79], s[20:21], v[134:135]
	;; [unrolled: 1-line block ×11, first 2 shown]
	v_fma_f64 v[36:37], v[82:83], s[30:31], -v[148:149]
	v_fma_f64 v[78:79], v[82:83], s[6:7], v[150:151]
	v_fma_f64 v[148:149], v[82:83], s[6:7], -v[150:151]
	v_fma_f64 v[150:151], v[82:83], s[24:25], v[152:153]
	v_fma_f64 v[152:153], v[82:83], s[24:25], -v[152:153]
	v_fma_f64 v[227:228], v[82:83], s[12:13], v[154:155]
	v_fma_f64 v[154:155], v[82:83], s[12:13], -v[154:155]
	v_fma_f64 v[229:230], v[82:83], s[18:19], v[80:81]
	v_fma_f64 v[80:81], v[82:83], s[18:19], -v[80:81]
	v_fma_f64 v[82:83], v[86:87], s[28:29], v[156:157]
	v_fma_f64 v[156:157], v[86:87], s[26:27], v[156:157]
	v_fma_f64 v[231:232], v[86:87], s[0:1], v[158:159]
	;; [unrolled: 1-line block ×9, first 2 shown]
	v_add_f64 v[86:87], v[0:1], v[88:89]
	v_add_f64 v[88:89], v[0:1], v[169:170]
	;; [unrolled: 1-line block ×104, first 2 shown]
	ds_write_b128 v166, v[0:3] offset:2496
	ds_write_b128 v166, v[12:15] offset:4992
	;; [unrolled: 1-line block ×10, first 2 shown]
	ds_write_b128 v166, v[44:47]
	s_waitcnt lgkmcnt(0)
	s_barrier
	buffer_gl0_inv
	s_and_saveexec_b32 s0, vcc_lo
	s_cbranch_execz .LBB0_31
; %bb.30:
	v_lshl_add_u32 v28, v60, 4, 0
	v_mov_b32_e32 v61, 0
	v_add_nc_u32_e32 v8, 0x9c, v60
	v_add_co_u32 v30, vcc_lo, s2, v62
	ds_read_b128 v[0:3], v28
	ds_read_b128 v[4:7], v28 offset:2496
	v_mov_b32_e32 v9, v61
	v_lshlrev_b64 v[10:11], 4, v[60:61]
	v_add_co_ci_u32_e32 v31, vcc_lo, s3, v63, vcc_lo
	v_add_nc_u32_e32 v12, 0x138, v60
	v_lshlrev_b64 v[8:9], 4, v[8:9]
	v_mov_b32_e32 v13, v61
	v_add_co_u32 v10, vcc_lo, v30, v10
	v_add_co_ci_u32_e32 v11, vcc_lo, v31, v11, vcc_lo
	v_add_co_u32 v8, vcc_lo, v30, v8
	v_add_co_ci_u32_e32 v9, vcc_lo, v31, v9, vcc_lo
	v_lshlrev_b64 v[12:13], 4, v[12:13]
	v_add_nc_u32_e32 v14, 0x1d4, v60
	v_mov_b32_e32 v15, v61
	v_add_nc_u32_e32 v22, 0x30c, v60
	s_waitcnt lgkmcnt(1)
	global_store_dwordx4 v[10:11], v[0:3], off
	s_waitcnt lgkmcnt(0)
	global_store_dwordx4 v[8:9], v[4:7], off
	v_add_nc_u32_e32 v8, 0x270, v60
	v_mov_b32_e32 v9, v61
	ds_read_b128 v[0:3], v28 offset:4992
	ds_read_b128 v[4:7], v28 offset:7488
	v_add_co_u32 v16, vcc_lo, v30, v12
	v_add_co_ci_u32_e32 v17, vcc_lo, v31, v13, vcc_lo
	v_lshlrev_b64 v[18:19], 4, v[14:15]
	v_lshlrev_b64 v[20:21], 4, v[8:9]
	ds_read_b128 v[8:11], v28 offset:9984
	ds_read_b128 v[12:15], v28 offset:12480
	v_mov_b32_e32 v23, v61
	v_add_nc_u32_e32 v24, 0x3a8, v60
	v_mov_b32_e32 v25, v61
	v_add_co_u32 v18, vcc_lo, v30, v18
	v_lshlrev_b64 v[22:23], 4, v[22:23]
	v_add_co_ci_u32_e32 v19, vcc_lo, v31, v19, vcc_lo
	v_add_co_u32 v20, vcc_lo, v30, v20
	v_add_co_ci_u32_e32 v21, vcc_lo, v31, v21, vcc_lo
	v_add_co_u32 v22, vcc_lo, v30, v22
	s_waitcnt lgkmcnt(3)
	global_store_dwordx4 v[16:17], v[0:3], off
	s_waitcnt lgkmcnt(2)
	global_store_dwordx4 v[18:19], v[4:7], off
	v_add_nc_u32_e32 v2, 0x444, v60
	v_mov_b32_e32 v3, v61
	v_add_co_ci_u32_e32 v23, vcc_lo, v31, v23, vcc_lo
	v_lshlrev_b64 v[0:1], 4, v[24:25]
	s_waitcnt lgkmcnt(1)
	global_store_dwordx4 v[20:21], v[8:11], off
	s_waitcnt lgkmcnt(0)
	global_store_dwordx4 v[22:23], v[12:15], off
	v_lshlrev_b64 v[8:9], 4, v[2:3]
	v_add_nc_u32_e32 v10, 0x4e0, v60
	v_mov_b32_e32 v11, v61
	v_add_co_u32 v20, vcc_lo, v30, v0
	v_add_co_ci_u32_e32 v21, vcc_lo, v31, v1, vcc_lo
	v_add_co_u32 v22, vcc_lo, v30, v8
	ds_read_b128 v[0:3], v28 offset:14976
	ds_read_b128 v[4:7], v28 offset:17472
	v_add_co_ci_u32_e32 v23, vcc_lo, v31, v9, vcc_lo
	v_lshlrev_b64 v[26:27], 4, v[10:11]
	ds_read_b128 v[8:11], v28 offset:19968
	ds_read_b128 v[12:15], v28 offset:22464
	;; [unrolled: 1-line block ×3, first 2 shown]
	v_add_nc_u32_e32 v24, 0x57c, v60
	v_add_nc_u32_e32 v60, 0x618, v60
	v_add_co_u32 v26, vcc_lo, v30, v26
	v_lshlrev_b64 v[24:25], 4, v[24:25]
	v_lshlrev_b64 v[28:29], 4, v[60:61]
	v_add_co_ci_u32_e32 v27, vcc_lo, v31, v27, vcc_lo
	v_add_co_u32 v24, vcc_lo, v30, v24
	v_add_co_ci_u32_e32 v25, vcc_lo, v31, v25, vcc_lo
	v_add_co_u32 v28, vcc_lo, v30, v28
	v_add_co_ci_u32_e32 v29, vcc_lo, v31, v29, vcc_lo
	s_waitcnt lgkmcnt(4)
	global_store_dwordx4 v[20:21], v[0:3], off
	s_waitcnt lgkmcnt(3)
	global_store_dwordx4 v[22:23], v[4:7], off
	;; [unrolled: 2-line block ×5, first 2 shown]
.LBB0_31:
	s_endpgm
	.section	.rodata,"a",@progbits
	.p2align	6, 0x0
	.amdhsa_kernel fft_rtc_back_len1716_factors_13_2_6_11_wgs_156_tpt_156_dp_ip_CI_unitstride_sbrr_C2R_dirReg
		.amdhsa_group_segment_fixed_size 0
		.amdhsa_private_segment_fixed_size 0
		.amdhsa_kernarg_size 88
		.amdhsa_user_sgpr_count 6
		.amdhsa_user_sgpr_private_segment_buffer 1
		.amdhsa_user_sgpr_dispatch_ptr 0
		.amdhsa_user_sgpr_queue_ptr 0
		.amdhsa_user_sgpr_kernarg_segment_ptr 1
		.amdhsa_user_sgpr_dispatch_id 0
		.amdhsa_user_sgpr_flat_scratch_init 0
		.amdhsa_user_sgpr_private_segment_size 0
		.amdhsa_wavefront_size32 1
		.amdhsa_uses_dynamic_stack 0
		.amdhsa_system_sgpr_private_segment_wavefront_offset 0
		.amdhsa_system_sgpr_workgroup_id_x 1
		.amdhsa_system_sgpr_workgroup_id_y 0
		.amdhsa_system_sgpr_workgroup_id_z 0
		.amdhsa_system_sgpr_workgroup_info 0
		.amdhsa_system_vgpr_workitem_id 0
		.amdhsa_next_free_vgpr 243
		.amdhsa_next_free_sgpr 42
		.amdhsa_reserve_vcc 1
		.amdhsa_reserve_flat_scratch 0
		.amdhsa_float_round_mode_32 0
		.amdhsa_float_round_mode_16_64 0
		.amdhsa_float_denorm_mode_32 3
		.amdhsa_float_denorm_mode_16_64 3
		.amdhsa_dx10_clamp 1
		.amdhsa_ieee_mode 1
		.amdhsa_fp16_overflow 0
		.amdhsa_workgroup_processor_mode 1
		.amdhsa_memory_ordered 1
		.amdhsa_forward_progress 0
		.amdhsa_shared_vgpr_count 0
		.amdhsa_exception_fp_ieee_invalid_op 0
		.amdhsa_exception_fp_denorm_src 0
		.amdhsa_exception_fp_ieee_div_zero 0
		.amdhsa_exception_fp_ieee_overflow 0
		.amdhsa_exception_fp_ieee_underflow 0
		.amdhsa_exception_fp_ieee_inexact 0
		.amdhsa_exception_int_div_zero 0
	.end_amdhsa_kernel
	.text
.Lfunc_end0:
	.size	fft_rtc_back_len1716_factors_13_2_6_11_wgs_156_tpt_156_dp_ip_CI_unitstride_sbrr_C2R_dirReg, .Lfunc_end0-fft_rtc_back_len1716_factors_13_2_6_11_wgs_156_tpt_156_dp_ip_CI_unitstride_sbrr_C2R_dirReg
                                        ; -- End function
	.section	.AMDGPU.csdata,"",@progbits
; Kernel info:
; codeLenInByte = 13504
; NumSgprs: 44
; NumVgprs: 243
; ScratchSize: 0
; MemoryBound: 0
; FloatMode: 240
; IeeeMode: 1
; LDSByteSize: 0 bytes/workgroup (compile time only)
; SGPRBlocks: 5
; VGPRBlocks: 30
; NumSGPRsForWavesPerEU: 44
; NumVGPRsForWavesPerEU: 243
; Occupancy: 4
; WaveLimiterHint : 1
; COMPUTE_PGM_RSRC2:SCRATCH_EN: 0
; COMPUTE_PGM_RSRC2:USER_SGPR: 6
; COMPUTE_PGM_RSRC2:TRAP_HANDLER: 0
; COMPUTE_PGM_RSRC2:TGID_X_EN: 1
; COMPUTE_PGM_RSRC2:TGID_Y_EN: 0
; COMPUTE_PGM_RSRC2:TGID_Z_EN: 0
; COMPUTE_PGM_RSRC2:TIDIG_COMP_CNT: 0
	.text
	.p2alignl 6, 3214868480
	.fill 48, 4, 3214868480
	.type	__hip_cuid_394a4821ff063468,@object ; @__hip_cuid_394a4821ff063468
	.section	.bss,"aw",@nobits
	.globl	__hip_cuid_394a4821ff063468
__hip_cuid_394a4821ff063468:
	.byte	0                               ; 0x0
	.size	__hip_cuid_394a4821ff063468, 1

	.ident	"AMD clang version 19.0.0git (https://github.com/RadeonOpenCompute/llvm-project roc-6.4.0 25133 c7fe45cf4b819c5991fe208aaa96edf142730f1d)"
	.section	".note.GNU-stack","",@progbits
	.addrsig
	.addrsig_sym __hip_cuid_394a4821ff063468
	.amdgpu_metadata
---
amdhsa.kernels:
  - .args:
      - .actual_access:  read_only
        .address_space:  global
        .offset:         0
        .size:           8
        .value_kind:     global_buffer
      - .offset:         8
        .size:           8
        .value_kind:     by_value
      - .actual_access:  read_only
        .address_space:  global
        .offset:         16
        .size:           8
        .value_kind:     global_buffer
      - .actual_access:  read_only
        .address_space:  global
        .offset:         24
        .size:           8
        .value_kind:     global_buffer
      - .offset:         32
        .size:           8
        .value_kind:     by_value
      - .actual_access:  read_only
        .address_space:  global
        .offset:         40
        .size:           8
        .value_kind:     global_buffer
      - .actual_access:  read_only
        .address_space:  global
        .offset:         48
        .size:           8
        .value_kind:     global_buffer
      - .offset:         56
        .size:           4
        .value_kind:     by_value
      - .actual_access:  read_only
        .address_space:  global
        .offset:         64
        .size:           8
        .value_kind:     global_buffer
      - .actual_access:  read_only
        .address_space:  global
        .offset:         72
        .size:           8
        .value_kind:     global_buffer
      - .address_space:  global
        .offset:         80
        .size:           8
        .value_kind:     global_buffer
    .group_segment_fixed_size: 0
    .kernarg_segment_align: 8
    .kernarg_segment_size: 88
    .language:       OpenCL C
    .language_version:
      - 2
      - 0
    .max_flat_workgroup_size: 156
    .name:           fft_rtc_back_len1716_factors_13_2_6_11_wgs_156_tpt_156_dp_ip_CI_unitstride_sbrr_C2R_dirReg
    .private_segment_fixed_size: 0
    .sgpr_count:     44
    .sgpr_spill_count: 0
    .symbol:         fft_rtc_back_len1716_factors_13_2_6_11_wgs_156_tpt_156_dp_ip_CI_unitstride_sbrr_C2R_dirReg.kd
    .uniform_work_group_size: 1
    .uses_dynamic_stack: false
    .vgpr_count:     243
    .vgpr_spill_count: 0
    .wavefront_size: 32
    .workgroup_processor_mode: 1
amdhsa.target:   amdgcn-amd-amdhsa--gfx1030
amdhsa.version:
  - 1
  - 2
...

	.end_amdgpu_metadata
